;; amdgpu-corpus repo=ROCm/rocSOLVER kind=compiled arch=gfx906 opt=O3
	.amdgcn_target "amdgcn-amd-amdhsa--gfx906"
	.amdhsa_code_object_version 6
	.section	.text._ZN9rocsolver6v33100L15rf_ipvec_kernelIfEEviPiS2_,"axG",@progbits,_ZN9rocsolver6v33100L15rf_ipvec_kernelIfEEviPiS2_,comdat
	.globl	_ZN9rocsolver6v33100L15rf_ipvec_kernelIfEEviPiS2_ ; -- Begin function _ZN9rocsolver6v33100L15rf_ipvec_kernelIfEEviPiS2_
	.p2align	8
	.type	_ZN9rocsolver6v33100L15rf_ipvec_kernelIfEEviPiS2_,@function
_ZN9rocsolver6v33100L15rf_ipvec_kernelIfEEviPiS2_: ; @_ZN9rocsolver6v33100L15rf_ipvec_kernelIfEEviPiS2_
; %bb.0:
	s_load_dword s0, s[4:5], 0x24
	s_load_dword s1, s[4:5], 0x0
	s_waitcnt lgkmcnt(0)
	s_and_b32 s0, s0, 0xffff
	s_mul_i32 s6, s6, s0
	v_add_u32_e32 v0, s6, v0
	v_cmp_gt_i32_e32 vcc, s1, v0
	s_and_saveexec_b64 s[0:1], vcc
	s_cbranch_execz .LBB0_2
; %bb.1:
	s_load_dwordx4 s[0:3], s[4:5], 0x8
	v_ashrrev_i32_e32 v1, 31, v0
	v_lshlrev_b64 v[1:2], 2, v[0:1]
	s_waitcnt lgkmcnt(0)
	v_mov_b32_e32 v3, s1
	v_add_co_u32_e32 v1, vcc, s0, v1
	v_addc_co_u32_e32 v2, vcc, v3, v2, vcc
	global_load_dword v1, v[1:2], off
	v_mov_b32_e32 v3, s3
	s_waitcnt vmcnt(0)
	v_ashrrev_i32_e32 v2, 31, v1
	v_lshlrev_b64 v[1:2], 2, v[1:2]
	v_add_co_u32_e32 v1, vcc, s2, v1
	v_addc_co_u32_e32 v2, vcc, v3, v2, vcc
	global_store_dword v[1:2], v0, off
.LBB0_2:
	s_endpgm
	.section	.rodata,"a",@progbits
	.p2align	6, 0x0
	.amdhsa_kernel _ZN9rocsolver6v33100L15rf_ipvec_kernelIfEEviPiS2_
		.amdhsa_group_segment_fixed_size 0
		.amdhsa_private_segment_fixed_size 0
		.amdhsa_kernarg_size 280
		.amdhsa_user_sgpr_count 6
		.amdhsa_user_sgpr_private_segment_buffer 1
		.amdhsa_user_sgpr_dispatch_ptr 0
		.amdhsa_user_sgpr_queue_ptr 0
		.amdhsa_user_sgpr_kernarg_segment_ptr 1
		.amdhsa_user_sgpr_dispatch_id 0
		.amdhsa_user_sgpr_flat_scratch_init 0
		.amdhsa_user_sgpr_private_segment_size 0
		.amdhsa_uses_dynamic_stack 0
		.amdhsa_system_sgpr_private_segment_wavefront_offset 0
		.amdhsa_system_sgpr_workgroup_id_x 1
		.amdhsa_system_sgpr_workgroup_id_y 0
		.amdhsa_system_sgpr_workgroup_id_z 0
		.amdhsa_system_sgpr_workgroup_info 0
		.amdhsa_system_vgpr_workitem_id 0
		.amdhsa_next_free_vgpr 4
		.amdhsa_next_free_sgpr 7
		.amdhsa_reserve_vcc 1
		.amdhsa_reserve_flat_scratch 0
		.amdhsa_float_round_mode_32 0
		.amdhsa_float_round_mode_16_64 0
		.amdhsa_float_denorm_mode_32 3
		.amdhsa_float_denorm_mode_16_64 3
		.amdhsa_dx10_clamp 1
		.amdhsa_ieee_mode 1
		.amdhsa_fp16_overflow 0
		.amdhsa_exception_fp_ieee_invalid_op 0
		.amdhsa_exception_fp_denorm_src 0
		.amdhsa_exception_fp_ieee_div_zero 0
		.amdhsa_exception_fp_ieee_overflow 0
		.amdhsa_exception_fp_ieee_underflow 0
		.amdhsa_exception_fp_ieee_inexact 0
		.amdhsa_exception_int_div_zero 0
	.end_amdhsa_kernel
	.section	.text._ZN9rocsolver6v33100L15rf_ipvec_kernelIfEEviPiS2_,"axG",@progbits,_ZN9rocsolver6v33100L15rf_ipvec_kernelIfEEviPiS2_,comdat
.Lfunc_end0:
	.size	_ZN9rocsolver6v33100L15rf_ipvec_kernelIfEEviPiS2_, .Lfunc_end0-_ZN9rocsolver6v33100L15rf_ipvec_kernelIfEEviPiS2_
                                        ; -- End function
	.set _ZN9rocsolver6v33100L15rf_ipvec_kernelIfEEviPiS2_.num_vgpr, 4
	.set _ZN9rocsolver6v33100L15rf_ipvec_kernelIfEEviPiS2_.num_agpr, 0
	.set _ZN9rocsolver6v33100L15rf_ipvec_kernelIfEEviPiS2_.numbered_sgpr, 7
	.set _ZN9rocsolver6v33100L15rf_ipvec_kernelIfEEviPiS2_.num_named_barrier, 0
	.set _ZN9rocsolver6v33100L15rf_ipvec_kernelIfEEviPiS2_.private_seg_size, 0
	.set _ZN9rocsolver6v33100L15rf_ipvec_kernelIfEEviPiS2_.uses_vcc, 1
	.set _ZN9rocsolver6v33100L15rf_ipvec_kernelIfEEviPiS2_.uses_flat_scratch, 0
	.set _ZN9rocsolver6v33100L15rf_ipvec_kernelIfEEviPiS2_.has_dyn_sized_stack, 0
	.set _ZN9rocsolver6v33100L15rf_ipvec_kernelIfEEviPiS2_.has_recursion, 0
	.set _ZN9rocsolver6v33100L15rf_ipvec_kernelIfEEviPiS2_.has_indirect_call, 0
	.section	.AMDGPU.csdata,"",@progbits
; Kernel info:
; codeLenInByte = 132
; TotalNumSgprs: 11
; NumVgprs: 4
; ScratchSize: 0
; MemoryBound: 0
; FloatMode: 240
; IeeeMode: 1
; LDSByteSize: 0 bytes/workgroup (compile time only)
; SGPRBlocks: 1
; VGPRBlocks: 0
; NumSGPRsForWavesPerEU: 11
; NumVGPRsForWavesPerEU: 4
; Occupancy: 10
; WaveLimiterHint : 1
; COMPUTE_PGM_RSRC2:SCRATCH_EN: 0
; COMPUTE_PGM_RSRC2:USER_SGPR: 6
; COMPUTE_PGM_RSRC2:TRAP_HANDLER: 0
; COMPUTE_PGM_RSRC2:TGID_X_EN: 1
; COMPUTE_PGM_RSRC2:TGID_Y_EN: 0
; COMPUTE_PGM_RSRC2:TGID_Z_EN: 0
; COMPUTE_PGM_RSRC2:TIDIG_COMP_CNT: 0
	.section	.text._ZN9rocsolver6v33100L17rf_add_QAQ_kernelIfEEviPiS2_T_S2_S2_PS3_S2_S2_S4_,"axG",@progbits,_ZN9rocsolver6v33100L17rf_add_QAQ_kernelIfEEviPiS2_T_S2_S2_PS3_S2_S2_S4_,comdat
	.globl	_ZN9rocsolver6v33100L17rf_add_QAQ_kernelIfEEviPiS2_T_S2_S2_PS3_S2_S2_S4_ ; -- Begin function _ZN9rocsolver6v33100L17rf_add_QAQ_kernelIfEEviPiS2_T_S2_S2_PS3_S2_S2_S4_
	.p2align	8
	.type	_ZN9rocsolver6v33100L17rf_add_QAQ_kernelIfEEviPiS2_T_S2_S2_PS3_S2_S2_S4_,@function
_ZN9rocsolver6v33100L17rf_add_QAQ_kernelIfEEviPiS2_T_S2_S2_PS3_S2_S2_S4_: ; @_ZN9rocsolver6v33100L17rf_add_QAQ_kernelIfEEviPiS2_T_S2_S2_PS3_S2_S2_S4_
; %bb.0:
	s_load_dword s0, s[4:5], 0x5c
	s_load_dword s1, s[4:5], 0x0
	s_add_u32 s24, s4, 0x50
	s_addc_u32 s25, s5, 0
	s_waitcnt lgkmcnt(0)
	s_and_b32 s0, s0, 0xffff
	s_mul_i32 s6, s6, s0
	v_add_u32_e32 v2, s6, v0
	v_cmp_gt_i32_e32 vcc, s1, v2
	s_and_saveexec_b64 s[0:1], vcc
	s_cbranch_execz .LBB1_24
; %bb.1:
	s_load_dwordx4 s[16:19], s[4:5], 0x8
	v_mov_b32_e32 v3, v2
	s_waitcnt lgkmcnt(0)
	s_cmp_eq_u64 s[16:17], 0
	s_cbranch_scc1 .LBB1_3
; %bb.2:
	v_ashrrev_i32_e32 v3, 31, v2
	v_lshlrev_b64 v[3:4], 2, v[2:3]
	v_mov_b32_e32 v0, s17
	v_add_co_u32_e32 v3, vcc, s16, v3
	v_addc_co_u32_e32 v4, vcc, v0, v4, vcc
	global_load_dword v3, v[3:4], off
.LBB1_3:
	s_load_dwordx8 s[8:15], s[4:5], 0x20
	s_waitcnt vmcnt(0)
	v_ashrrev_i32_e32 v4, 31, v3
	v_lshlrev_b64 v[4:5], 2, v[3:4]
	s_waitcnt lgkmcnt(0)
	v_mov_b32_e32 v0, s9
	v_add_co_u32_e32 v4, vcc, s8, v4
	v_addc_co_u32_e32 v5, vcc, v0, v5, vcc
	global_load_dwordx2 v[4:5], v[4:5], off
	s_waitcnt vmcnt(0)
	v_add_u32_e32 v0, v4, v1
	v_cmp_lt_i32_e32 vcc, v0, v5
	s_and_b64 exec, exec, vcc
	s_cbranch_execz .LBB1_24
; %bb.4:
	s_load_dwordx4 s[20:23], s[4:5], 0x40
	s_load_dword s30, s[4:5], 0x18
	s_cmp_lg_u64 s[18:19], 0
	s_cselect_b64 s[0:1], -1, 0
	v_cndmask_b32_e64 v1, 0, 1, s[0:1]
	s_mov_b64 s[4:5], 0
	v_mov_b32_e32 v4, s11
	v_cmp_ne_u32_e64 s[0:1], 1, v1
	s_branch .LBB1_7
.LBB1_5:                                ;   in Loop: Header=BB1_7 Depth=1
	s_or_b64 exec, exec, s[2:3]
	s_load_dword s2, s[24:25], 0xc
	s_waitcnt lgkmcnt(0)
	s_lshr_b32 s2, s2, 16
	v_add_u32_e32 v0, s2, v0
	v_cmp_ge_i32_e32 vcc, v0, v5
	s_orn2_b64 s[2:3], vcc, exec
.LBB1_6:                                ;   in Loop: Header=BB1_7 Depth=1
	s_or_b64 exec, exec, s[6:7]
	s_and_b64 s[2:3], exec, s[2:3]
	s_or_b64 s[4:5], s[2:3], s[4:5]
	s_andn2_b64 exec, exec, s[4:5]
	s_cbranch_execz .LBB1_24
.LBB1_7:                                ; =>This Loop Header: Depth=1
                                        ;     Child Loop BB1_12 Depth 2
                                        ;     Child Loop BB1_18 Depth 2
	v_ashrrev_i32_e32 v1, 31, v0
	v_lshlrev_b64 v[6:7], 2, v[0:1]
	v_add_co_u32_e32 v8, vcc, s10, v6
	v_addc_co_u32_e32 v9, vcc, v4, v7, vcc
	global_load_dword v8, v[8:9], off
	s_and_b64 vcc, exec, s[0:1]
	s_waitcnt vmcnt(0)
	v_mov_b32_e32 v10, v8
	s_cbranch_vccnz .LBB1_9
; %bb.8:                                ;   in Loop: Header=BB1_7 Depth=1
	v_ashrrev_i32_e32 v9, 31, v8
	v_lshlrev_b64 v[9:10], 2, v[8:9]
	v_mov_b32_e32 v1, s19
	v_add_co_u32_e32 v9, vcc, s18, v9
	v_addc_co_u32_e32 v10, vcc, v1, v10, vcc
	global_load_dword v10, v[9:10], off
.LBB1_9:                                ;   in Loop: Header=BB1_7 Depth=1
	v_cmp_ge_i32_e32 vcc, v3, v8
	s_mov_b64 s[2:3], -1
	s_and_saveexec_b64 s[6:7], vcc
	s_cbranch_execz .LBB1_6
; %bb.10:                               ;   in Loop: Header=BB1_7 Depth=1
	s_waitcnt vmcnt(0)
	v_max_i32_e32 v8, v2, v10
	v_mov_b32_e32 v1, s13
	v_add_co_u32_e32 v6, vcc, s12, v6
	v_ashrrev_i32_e32 v9, 31, v8
	v_addc_co_u32_e32 v7, vcc, v1, v7, vcc
	global_load_dword v1, v[6:7], off
	v_lshlrev_b64 v[6:7], 2, v[8:9]
	v_mov_b32_e32 v8, s15
	v_add_co_u32_e32 v6, vcc, s14, v6
	v_addc_co_u32_e32 v7, vcc, v8, v7, vcc
	global_load_dwordx2 v[8:9], v[6:7], off
	v_min_i32_e32 v10, v2, v10
	s_mov_b64 s[8:9], 0
                                        ; implicit-def: $sgpr16_sgpr17
                                        ; implicit-def: $sgpr2_sgpr3
                                        ; implicit-def: $sgpr26_sgpr27
	s_branch .LBB1_12
.LBB1_11:                               ;   in Loop: Header=BB1_12 Depth=2
	s_or_b64 exec, exec, s[28:29]
	s_and_b64 s[28:29], exec, s[2:3]
	s_or_b64 s[8:9], s[28:29], s[8:9]
	s_andn2_b64 s[16:17], s[16:17], exec
	s_and_b64 s[28:29], s[26:27], exec
	s_or_b64 s[16:17], s[16:17], s[28:29]
	s_andn2_b64 exec, exec, s[8:9]
	s_cbranch_execz .LBB1_14
.LBB1_12:                               ;   Parent Loop BB1_7 Depth=1
                                        ; =>  This Inner Loop Header: Depth=2
	s_waitcnt vmcnt(0)
	v_mov_b32_e32 v11, v9
	v_mov_b32_e32 v6, v8
	v_sub_u32_e32 v9, v11, v6
	v_cmp_lt_i32_e32 vcc, 8, v9
	s_or_b64 s[26:27], s[26:27], exec
	s_or_b64 s[2:3], s[2:3], exec
                                        ; implicit-def: $vgpr8
                                        ; implicit-def: $vgpr7
	s_and_saveexec_b64 s[28:29], vcc
	s_cbranch_execz .LBB1_11
; %bb.13:                               ;   in Loop: Header=BB1_12 Depth=2
	v_lshrrev_b32_e32 v7, 1, v9
	v_add_u32_e32 v7, v7, v6
	v_ashrrev_i32_e32 v8, 31, v7
	v_lshlrev_b64 v[8:9], 2, v[7:8]
	s_waitcnt lgkmcnt(0)
	v_mov_b32_e32 v12, s21
	v_add_co_u32_e32 v8, vcc, s20, v8
	v_addc_co_u32_e32 v9, vcc, v12, v9, vcc
	global_load_dword v8, v[8:9], off
	s_andn2_b64 s[34:35], s[2:3], exec
	v_add_u32_e32 v12, 1, v7
	s_andn2_b64 s[26:27], s[26:27], exec
	s_waitcnt vmcnt(0)
	v_cmp_eq_u32_e32 vcc, v8, v10
	v_cmp_gt_i32_e64 s[2:3], v8, v10
	v_cndmask_b32_e64 v9, v11, v7, s[2:3]
	v_cndmask_b32_e64 v8, v12, v6, s[2:3]
	s_and_b64 s[2:3], vcc, exec
	s_or_b64 s[2:3], s[34:35], s[2:3]
	s_branch .LBB1_11
.LBB1_14:                               ;   in Loop: Header=BB1_7 Depth=1
	s_or_b64 exec, exec, s[8:9]
	s_and_saveexec_b64 s[2:3], s[16:17]
	s_xor_b64 s[2:3], exec, s[2:3]
	s_cbranch_execz .LBB1_22
; %bb.15:                               ;   in Loop: Header=BB1_7 Depth=1
	v_cmp_gt_i32_e32 vcc, v11, v6
	v_mov_b32_e32 v7, -1
	s_and_saveexec_b64 s[8:9], vcc
	s_cbranch_execz .LBB1_21
; %bb.16:                               ;   in Loop: Header=BB1_7 Depth=1
	v_ashrrev_i32_e32 v7, 31, v6
	v_lshlrev_b64 v[8:9], 2, v[6:7]
	s_waitcnt lgkmcnt(0)
	v_mov_b32_e32 v7, s21
	v_add_co_u32_e32 v8, vcc, s20, v8
	v_addc_co_u32_e32 v9, vcc, v7, v9, vcc
	s_mov_b64 s[16:17], 0
                                        ; implicit-def: $sgpr26_sgpr27
	s_branch .LBB1_18
.LBB1_17:                               ;   in Loop: Header=BB1_18 Depth=2
	s_or_b64 exec, exec, s[28:29]
	s_and_b64 s[28:29], exec, s[26:27]
	v_mov_b32_e32 v7, v6
	s_or_b64 s[16:17], s[28:29], s[16:17]
	v_mov_b32_e32 v6, v12
	s_andn2_b64 exec, exec, s[16:17]
	s_cbranch_execz .LBB1_20
.LBB1_18:                               ;   Parent Loop BB1_7 Depth=1
                                        ; =>  This Inner Loop Header: Depth=2
	global_load_dword v7, v[8:9], off
	s_or_b64 s[26:27], s[26:27], exec
                                        ; implicit-def: $vgpr12
	s_waitcnt vmcnt(0)
	v_cmp_ne_u32_e32 vcc, v7, v10
	s_and_saveexec_b64 s[28:29], vcc
	s_cbranch_execz .LBB1_17
; %bb.19:                               ;   in Loop: Header=BB1_18 Depth=2
	v_add_co_u32_e32 v8, vcc, 4, v8
	v_add_u32_e32 v12, 1, v6
	v_addc_co_u32_e32 v9, vcc, 0, v9, vcc
	v_cmp_ge_i32_e32 vcc, v12, v11
	s_andn2_b64 s[26:27], s[26:27], exec
	s_and_b64 s[34:35], vcc, exec
	v_mov_b32_e32 v6, -1
	s_or_b64 s[26:27], s[26:27], s[34:35]
	s_branch .LBB1_17
.LBB1_20:                               ;   in Loop: Header=BB1_7 Depth=1
	s_or_b64 exec, exec, s[16:17]
.LBB1_21:                               ;   in Loop: Header=BB1_7 Depth=1
	s_or_b64 exec, exec, s[8:9]
.LBB1_22:                               ;   in Loop: Header=BB1_7 Depth=1
	s_or_b64 exec, exec, s[2:3]
	v_cmp_ne_u32_e32 vcc, -1, v7
	s_and_saveexec_b64 s[2:3], vcc
	s_cbranch_execz .LBB1_5
; %bb.23:                               ;   in Loop: Header=BB1_7 Depth=1
	v_ashrrev_i32_e32 v8, 31, v7
	v_lshlrev_b64 v[6:7], 2, v[7:8]
	s_waitcnt lgkmcnt(0)
	v_mov_b32_e32 v8, s23
	v_add_co_u32_e32 v6, vcc, s22, v6
	v_addc_co_u32_e32 v7, vcc, v8, v7, vcc
	global_load_dword v8, v[6:7], off
	s_waitcnt vmcnt(0)
	v_fmac_f32_e32 v8, s30, v1
	global_store_dword v[6:7], v8, off
	s_branch .LBB1_5
.LBB1_24:
	s_endpgm
	.section	.rodata,"a",@progbits
	.p2align	6, 0x0
	.amdhsa_kernel _ZN9rocsolver6v33100L17rf_add_QAQ_kernelIfEEviPiS2_T_S2_S2_PS3_S2_S2_S4_
		.amdhsa_group_segment_fixed_size 0
		.amdhsa_private_segment_fixed_size 0
		.amdhsa_kernarg_size 336
		.amdhsa_user_sgpr_count 6
		.amdhsa_user_sgpr_private_segment_buffer 1
		.amdhsa_user_sgpr_dispatch_ptr 0
		.amdhsa_user_sgpr_queue_ptr 0
		.amdhsa_user_sgpr_kernarg_segment_ptr 1
		.amdhsa_user_sgpr_dispatch_id 0
		.amdhsa_user_sgpr_flat_scratch_init 0
		.amdhsa_user_sgpr_private_segment_size 0
		.amdhsa_uses_dynamic_stack 0
		.amdhsa_system_sgpr_private_segment_wavefront_offset 0
		.amdhsa_system_sgpr_workgroup_id_x 1
		.amdhsa_system_sgpr_workgroup_id_y 0
		.amdhsa_system_sgpr_workgroup_id_z 0
		.amdhsa_system_sgpr_workgroup_info 0
		.amdhsa_system_vgpr_workitem_id 1
		.amdhsa_next_free_vgpr 13
		.amdhsa_next_free_sgpr 36
		.amdhsa_reserve_vcc 1
		.amdhsa_reserve_flat_scratch 0
		.amdhsa_float_round_mode_32 0
		.amdhsa_float_round_mode_16_64 0
		.amdhsa_float_denorm_mode_32 3
		.amdhsa_float_denorm_mode_16_64 3
		.amdhsa_dx10_clamp 1
		.amdhsa_ieee_mode 1
		.amdhsa_fp16_overflow 0
		.amdhsa_exception_fp_ieee_invalid_op 0
		.amdhsa_exception_fp_denorm_src 0
		.amdhsa_exception_fp_ieee_div_zero 0
		.amdhsa_exception_fp_ieee_overflow 0
		.amdhsa_exception_fp_ieee_underflow 0
		.amdhsa_exception_fp_ieee_inexact 0
		.amdhsa_exception_int_div_zero 0
	.end_amdhsa_kernel
	.section	.text._ZN9rocsolver6v33100L17rf_add_QAQ_kernelIfEEviPiS2_T_S2_S2_PS3_S2_S2_S4_,"axG",@progbits,_ZN9rocsolver6v33100L17rf_add_QAQ_kernelIfEEviPiS2_T_S2_S2_PS3_S2_S2_S4_,comdat
.Lfunc_end1:
	.size	_ZN9rocsolver6v33100L17rf_add_QAQ_kernelIfEEviPiS2_T_S2_S2_PS3_S2_S2_S4_, .Lfunc_end1-_ZN9rocsolver6v33100L17rf_add_QAQ_kernelIfEEviPiS2_T_S2_S2_PS3_S2_S2_S4_
                                        ; -- End function
	.set _ZN9rocsolver6v33100L17rf_add_QAQ_kernelIfEEviPiS2_T_S2_S2_PS3_S2_S2_S4_.num_vgpr, 13
	.set _ZN9rocsolver6v33100L17rf_add_QAQ_kernelIfEEviPiS2_T_S2_S2_PS3_S2_S2_S4_.num_agpr, 0
	.set _ZN9rocsolver6v33100L17rf_add_QAQ_kernelIfEEviPiS2_T_S2_S2_PS3_S2_S2_S4_.numbered_sgpr, 36
	.set _ZN9rocsolver6v33100L17rf_add_QAQ_kernelIfEEviPiS2_T_S2_S2_PS3_S2_S2_S4_.num_named_barrier, 0
	.set _ZN9rocsolver6v33100L17rf_add_QAQ_kernelIfEEviPiS2_T_S2_S2_PS3_S2_S2_S4_.private_seg_size, 0
	.set _ZN9rocsolver6v33100L17rf_add_QAQ_kernelIfEEviPiS2_T_S2_S2_PS3_S2_S2_S4_.uses_vcc, 1
	.set _ZN9rocsolver6v33100L17rf_add_QAQ_kernelIfEEviPiS2_T_S2_S2_PS3_S2_S2_S4_.uses_flat_scratch, 0
	.set _ZN9rocsolver6v33100L17rf_add_QAQ_kernelIfEEviPiS2_T_S2_S2_PS3_S2_S2_S4_.has_dyn_sized_stack, 0
	.set _ZN9rocsolver6v33100L17rf_add_QAQ_kernelIfEEviPiS2_T_S2_S2_PS3_S2_S2_S4_.has_recursion, 0
	.set _ZN9rocsolver6v33100L17rf_add_QAQ_kernelIfEEviPiS2_T_S2_S2_PS3_S2_S2_S4_.has_indirect_call, 0
	.section	.AMDGPU.csdata,"",@progbits
; Kernel info:
; codeLenInByte = 864
; TotalNumSgprs: 40
; NumVgprs: 13
; ScratchSize: 0
; MemoryBound: 0
; FloatMode: 240
; IeeeMode: 1
; LDSByteSize: 0 bytes/workgroup (compile time only)
; SGPRBlocks: 4
; VGPRBlocks: 3
; NumSGPRsForWavesPerEU: 40
; NumVGPRsForWavesPerEU: 13
; Occupancy: 10
; WaveLimiterHint : 1
; COMPUTE_PGM_RSRC2:SCRATCH_EN: 0
; COMPUTE_PGM_RSRC2:USER_SGPR: 6
; COMPUTE_PGM_RSRC2:TRAP_HANDLER: 0
; COMPUTE_PGM_RSRC2:TGID_X_EN: 1
; COMPUTE_PGM_RSRC2:TGID_Y_EN: 0
; COMPUTE_PGM_RSRC2:TGID_Z_EN: 0
; COMPUTE_PGM_RSRC2:TIDIG_COMP_CNT: 1
	.section	.text._ZN9rocsolver6v33100L15rf_ipvec_kernelIdEEviPiS2_,"axG",@progbits,_ZN9rocsolver6v33100L15rf_ipvec_kernelIdEEviPiS2_,comdat
	.globl	_ZN9rocsolver6v33100L15rf_ipvec_kernelIdEEviPiS2_ ; -- Begin function _ZN9rocsolver6v33100L15rf_ipvec_kernelIdEEviPiS2_
	.p2align	8
	.type	_ZN9rocsolver6v33100L15rf_ipvec_kernelIdEEviPiS2_,@function
_ZN9rocsolver6v33100L15rf_ipvec_kernelIdEEviPiS2_: ; @_ZN9rocsolver6v33100L15rf_ipvec_kernelIdEEviPiS2_
; %bb.0:
	s_load_dword s0, s[4:5], 0x24
	s_load_dword s1, s[4:5], 0x0
	s_waitcnt lgkmcnt(0)
	s_and_b32 s0, s0, 0xffff
	s_mul_i32 s6, s6, s0
	v_add_u32_e32 v0, s6, v0
	v_cmp_gt_i32_e32 vcc, s1, v0
	s_and_saveexec_b64 s[0:1], vcc
	s_cbranch_execz .LBB2_2
; %bb.1:
	s_load_dwordx4 s[0:3], s[4:5], 0x8
	v_ashrrev_i32_e32 v1, 31, v0
	v_lshlrev_b64 v[1:2], 2, v[0:1]
	s_waitcnt lgkmcnt(0)
	v_mov_b32_e32 v3, s1
	v_add_co_u32_e32 v1, vcc, s0, v1
	v_addc_co_u32_e32 v2, vcc, v3, v2, vcc
	global_load_dword v1, v[1:2], off
	v_mov_b32_e32 v3, s3
	s_waitcnt vmcnt(0)
	v_ashrrev_i32_e32 v2, 31, v1
	v_lshlrev_b64 v[1:2], 2, v[1:2]
	v_add_co_u32_e32 v1, vcc, s2, v1
	v_addc_co_u32_e32 v2, vcc, v3, v2, vcc
	global_store_dword v[1:2], v0, off
.LBB2_2:
	s_endpgm
	.section	.rodata,"a",@progbits
	.p2align	6, 0x0
	.amdhsa_kernel _ZN9rocsolver6v33100L15rf_ipvec_kernelIdEEviPiS2_
		.amdhsa_group_segment_fixed_size 0
		.amdhsa_private_segment_fixed_size 0
		.amdhsa_kernarg_size 280
		.amdhsa_user_sgpr_count 6
		.amdhsa_user_sgpr_private_segment_buffer 1
		.amdhsa_user_sgpr_dispatch_ptr 0
		.amdhsa_user_sgpr_queue_ptr 0
		.amdhsa_user_sgpr_kernarg_segment_ptr 1
		.amdhsa_user_sgpr_dispatch_id 0
		.amdhsa_user_sgpr_flat_scratch_init 0
		.amdhsa_user_sgpr_private_segment_size 0
		.amdhsa_uses_dynamic_stack 0
		.amdhsa_system_sgpr_private_segment_wavefront_offset 0
		.amdhsa_system_sgpr_workgroup_id_x 1
		.amdhsa_system_sgpr_workgroup_id_y 0
		.amdhsa_system_sgpr_workgroup_id_z 0
		.amdhsa_system_sgpr_workgroup_info 0
		.amdhsa_system_vgpr_workitem_id 0
		.amdhsa_next_free_vgpr 4
		.amdhsa_next_free_sgpr 7
		.amdhsa_reserve_vcc 1
		.amdhsa_reserve_flat_scratch 0
		.amdhsa_float_round_mode_32 0
		.amdhsa_float_round_mode_16_64 0
		.amdhsa_float_denorm_mode_32 3
		.amdhsa_float_denorm_mode_16_64 3
		.amdhsa_dx10_clamp 1
		.amdhsa_ieee_mode 1
		.amdhsa_fp16_overflow 0
		.amdhsa_exception_fp_ieee_invalid_op 0
		.amdhsa_exception_fp_denorm_src 0
		.amdhsa_exception_fp_ieee_div_zero 0
		.amdhsa_exception_fp_ieee_overflow 0
		.amdhsa_exception_fp_ieee_underflow 0
		.amdhsa_exception_fp_ieee_inexact 0
		.amdhsa_exception_int_div_zero 0
	.end_amdhsa_kernel
	.section	.text._ZN9rocsolver6v33100L15rf_ipvec_kernelIdEEviPiS2_,"axG",@progbits,_ZN9rocsolver6v33100L15rf_ipvec_kernelIdEEviPiS2_,comdat
.Lfunc_end2:
	.size	_ZN9rocsolver6v33100L15rf_ipvec_kernelIdEEviPiS2_, .Lfunc_end2-_ZN9rocsolver6v33100L15rf_ipvec_kernelIdEEviPiS2_
                                        ; -- End function
	.set _ZN9rocsolver6v33100L15rf_ipvec_kernelIdEEviPiS2_.num_vgpr, 4
	.set _ZN9rocsolver6v33100L15rf_ipvec_kernelIdEEviPiS2_.num_agpr, 0
	.set _ZN9rocsolver6v33100L15rf_ipvec_kernelIdEEviPiS2_.numbered_sgpr, 7
	.set _ZN9rocsolver6v33100L15rf_ipvec_kernelIdEEviPiS2_.num_named_barrier, 0
	.set _ZN9rocsolver6v33100L15rf_ipvec_kernelIdEEviPiS2_.private_seg_size, 0
	.set _ZN9rocsolver6v33100L15rf_ipvec_kernelIdEEviPiS2_.uses_vcc, 1
	.set _ZN9rocsolver6v33100L15rf_ipvec_kernelIdEEviPiS2_.uses_flat_scratch, 0
	.set _ZN9rocsolver6v33100L15rf_ipvec_kernelIdEEviPiS2_.has_dyn_sized_stack, 0
	.set _ZN9rocsolver6v33100L15rf_ipvec_kernelIdEEviPiS2_.has_recursion, 0
	.set _ZN9rocsolver6v33100L15rf_ipvec_kernelIdEEviPiS2_.has_indirect_call, 0
	.section	.AMDGPU.csdata,"",@progbits
; Kernel info:
; codeLenInByte = 132
; TotalNumSgprs: 11
; NumVgprs: 4
; ScratchSize: 0
; MemoryBound: 0
; FloatMode: 240
; IeeeMode: 1
; LDSByteSize: 0 bytes/workgroup (compile time only)
; SGPRBlocks: 1
; VGPRBlocks: 0
; NumSGPRsForWavesPerEU: 11
; NumVGPRsForWavesPerEU: 4
; Occupancy: 10
; WaveLimiterHint : 1
; COMPUTE_PGM_RSRC2:SCRATCH_EN: 0
; COMPUTE_PGM_RSRC2:USER_SGPR: 6
; COMPUTE_PGM_RSRC2:TRAP_HANDLER: 0
; COMPUTE_PGM_RSRC2:TGID_X_EN: 1
; COMPUTE_PGM_RSRC2:TGID_Y_EN: 0
; COMPUTE_PGM_RSRC2:TGID_Z_EN: 0
; COMPUTE_PGM_RSRC2:TIDIG_COMP_CNT: 0
	.section	.text._ZN9rocsolver6v33100L17rf_add_QAQ_kernelIdEEviPiS2_T_S2_S2_PS3_S2_S2_S4_,"axG",@progbits,_ZN9rocsolver6v33100L17rf_add_QAQ_kernelIdEEviPiS2_T_S2_S2_PS3_S2_S2_S4_,comdat
	.globl	_ZN9rocsolver6v33100L17rf_add_QAQ_kernelIdEEviPiS2_T_S2_S2_PS3_S2_S2_S4_ ; -- Begin function _ZN9rocsolver6v33100L17rf_add_QAQ_kernelIdEEviPiS2_T_S2_S2_PS3_S2_S2_S4_
	.p2align	8
	.type	_ZN9rocsolver6v33100L17rf_add_QAQ_kernelIdEEviPiS2_T_S2_S2_PS3_S2_S2_S4_,@function
_ZN9rocsolver6v33100L17rf_add_QAQ_kernelIdEEviPiS2_T_S2_S2_PS3_S2_S2_S4_: ; @_ZN9rocsolver6v33100L17rf_add_QAQ_kernelIdEEviPiS2_T_S2_S2_PS3_S2_S2_S4_
; %bb.0:
	s_load_dword s0, s[4:5], 0x5c
	s_load_dword s1, s[4:5], 0x0
	s_add_u32 s24, s4, 0x50
	s_addc_u32 s25, s5, 0
	s_waitcnt lgkmcnt(0)
	s_and_b32 s0, s0, 0xffff
	s_mul_i32 s6, s6, s0
	v_add_u32_e32 v2, s6, v0
	v_cmp_gt_i32_e32 vcc, s1, v2
	s_and_saveexec_b64 s[0:1], vcc
	s_cbranch_execz .LBB3_24
; %bb.1:
	s_load_dwordx16 s[8:23], s[4:5], 0x8
	v_mov_b32_e32 v3, v2
	s_waitcnt lgkmcnt(0)
	s_cmp_eq_u64 s[8:9], 0
	s_cbranch_scc1 .LBB3_3
; %bb.2:
	v_ashrrev_i32_e32 v3, 31, v2
	v_lshlrev_b64 v[3:4], 2, v[2:3]
	v_mov_b32_e32 v0, s9
	v_add_co_u32_e32 v3, vcc, s8, v3
	v_addc_co_u32_e32 v4, vcc, v0, v4, vcc
	global_load_dword v3, v[3:4], off
.LBB3_3:
	s_waitcnt vmcnt(0)
	v_ashrrev_i32_e32 v4, 31, v3
	v_lshlrev_b64 v[4:5], 2, v[3:4]
	v_mov_b32_e32 v0, s15
	v_add_co_u32_e32 v4, vcc, s14, v4
	v_addc_co_u32_e32 v5, vcc, v0, v5, vcc
	global_load_dwordx2 v[4:5], v[4:5], off
	s_waitcnt vmcnt(0)
	v_add_u32_e32 v0, v4, v1
	v_cmp_lt_i32_e32 vcc, v0, v5
	s_and_b64 exec, exec, vcc
	s_cbranch_execz .LBB3_24
; %bb.4:
	s_load_dwordx2 s[4:5], s[4:5], 0x48
	s_cmp_lg_u64 s[10:11], 0
	s_cselect_b64 s[0:1], -1, 0
	v_cndmask_b32_e64 v1, 0, 1, s[0:1]
	s_mov_b64 s[6:7], 0
	v_mov_b32_e32 v4, s17
	v_cmp_ne_u32_e64 s[0:1], 1, v1
	s_branch .LBB3_7
.LBB3_5:                                ;   in Loop: Header=BB3_7 Depth=1
	s_or_b64 exec, exec, s[2:3]
	s_load_dword s2, s[24:25], 0xc
	s_waitcnt lgkmcnt(0)
	s_lshr_b32 s2, s2, 16
	v_add_u32_e32 v0, s2, v0
	v_cmp_ge_i32_e32 vcc, v0, v5
	s_orn2_b64 s[2:3], vcc, exec
.LBB3_6:                                ;   in Loop: Header=BB3_7 Depth=1
	s_or_b64 exec, exec, s[8:9]
	s_and_b64 s[2:3], exec, s[2:3]
	s_or_b64 s[6:7], s[2:3], s[6:7]
	s_andn2_b64 exec, exec, s[6:7]
	s_cbranch_execz .LBB3_24
.LBB3_7:                                ; =>This Loop Header: Depth=1
                                        ;     Child Loop BB3_12 Depth 2
                                        ;     Child Loop BB3_18 Depth 2
	v_ashrrev_i32_e32 v1, 31, v0
	v_lshlrev_b64 v[6:7], 2, v[0:1]
	v_add_co_u32_e32 v6, vcc, s16, v6
	v_addc_co_u32_e32 v7, vcc, v4, v7, vcc
	global_load_dword v6, v[6:7], off
	s_and_b64 vcc, exec, s[0:1]
	s_waitcnt vmcnt(0)
	v_mov_b32_e32 v8, v6
	s_cbranch_vccnz .LBB3_9
; %bb.8:                                ;   in Loop: Header=BB3_7 Depth=1
	v_ashrrev_i32_e32 v7, 31, v6
	v_lshlrev_b64 v[7:8], 2, v[6:7]
	v_mov_b32_e32 v9, s11
	v_add_co_u32_e32 v7, vcc, s10, v7
	v_addc_co_u32_e32 v8, vcc, v9, v8, vcc
	global_load_dword v8, v[7:8], off
.LBB3_9:                                ;   in Loop: Header=BB3_7 Depth=1
	v_cmp_ge_i32_e32 vcc, v3, v6
	s_mov_b64 s[2:3], -1
	s_and_saveexec_b64 s[8:9], vcc
	s_cbranch_execz .LBB3_6
; %bb.10:                               ;   in Loop: Header=BB3_7 Depth=1
	s_waitcnt vmcnt(0)
	v_max_i32_e32 v9, v2, v8
	v_lshlrev_b64 v[6:7], 3, v[0:1]
	v_ashrrev_i32_e32 v10, 31, v9
	v_mov_b32_e32 v1, s19
	v_add_co_u32_e32 v6, vcc, s18, v6
	v_lshlrev_b64 v[9:10], 2, v[9:10]
	v_addc_co_u32_e32 v7, vcc, v1, v7, vcc
	v_mov_b32_e32 v1, s21
	v_add_co_u32_e32 v9, vcc, s20, v9
	v_addc_co_u32_e32 v10, vcc, v1, v10, vcc
	global_load_dwordx2 v[6:7], v[6:7], off
	v_min_i32_e32 v1, v2, v8
	global_load_dwordx2 v[10:11], v[9:10], off
	s_mov_b64 s[14:15], 0
                                        ; implicit-def: $sgpr26_sgpr27
                                        ; implicit-def: $sgpr2_sgpr3
                                        ; implicit-def: $sgpr28_sgpr29
	s_branch .LBB3_12
.LBB3_11:                               ;   in Loop: Header=BB3_12 Depth=2
	s_or_b64 exec, exec, s[30:31]
	s_and_b64 s[30:31], exec, s[2:3]
	s_or_b64 s[14:15], s[30:31], s[14:15]
	s_andn2_b64 s[26:27], s[26:27], exec
	s_and_b64 s[30:31], s[28:29], exec
	s_or_b64 s[26:27], s[26:27], s[30:31]
	s_andn2_b64 exec, exec, s[14:15]
	s_cbranch_execz .LBB3_14
.LBB3_12:                               ;   Parent Loop BB3_7 Depth=1
                                        ; =>  This Inner Loop Header: Depth=2
	s_waitcnt vmcnt(0)
	v_mov_b32_e32 v12, v11
	v_mov_b32_e32 v8, v10
	v_sub_u32_e32 v11, v12, v8
	v_cmp_lt_i32_e32 vcc, 8, v11
	s_or_b64 s[28:29], s[28:29], exec
	s_or_b64 s[2:3], s[2:3], exec
                                        ; implicit-def: $vgpr10
                                        ; implicit-def: $vgpr9
	s_and_saveexec_b64 s[30:31], vcc
	s_cbranch_execz .LBB3_11
; %bb.13:                               ;   in Loop: Header=BB3_12 Depth=2
	v_lshrrev_b32_e32 v9, 1, v11
	v_add_u32_e32 v9, v9, v8
	v_ashrrev_i32_e32 v10, 31, v9
	v_lshlrev_b64 v[10:11], 2, v[9:10]
	v_mov_b32_e32 v13, s23
	v_add_co_u32_e32 v10, vcc, s22, v10
	v_addc_co_u32_e32 v11, vcc, v13, v11, vcc
	global_load_dword v10, v[10:11], off
	s_andn2_b64 s[34:35], s[2:3], exec
	v_add_u32_e32 v13, 1, v9
	s_andn2_b64 s[28:29], s[28:29], exec
	s_waitcnt vmcnt(0)
	v_cmp_eq_u32_e32 vcc, v10, v1
	v_cmp_gt_i32_e64 s[2:3], v10, v1
	v_cndmask_b32_e64 v11, v12, v9, s[2:3]
	v_cndmask_b32_e64 v10, v13, v8, s[2:3]
	s_and_b64 s[2:3], vcc, exec
	s_or_b64 s[2:3], s[34:35], s[2:3]
	s_branch .LBB3_11
.LBB3_14:                               ;   in Loop: Header=BB3_7 Depth=1
	s_or_b64 exec, exec, s[14:15]
	s_and_saveexec_b64 s[2:3], s[26:27]
	s_xor_b64 s[2:3], exec, s[2:3]
	s_cbranch_execz .LBB3_22
; %bb.15:                               ;   in Loop: Header=BB3_7 Depth=1
	v_cmp_gt_i32_e32 vcc, v12, v8
	v_mov_b32_e32 v9, -1
	s_and_saveexec_b64 s[14:15], vcc
	s_cbranch_execz .LBB3_21
; %bb.16:                               ;   in Loop: Header=BB3_7 Depth=1
	v_ashrrev_i32_e32 v9, 31, v8
	v_lshlrev_b64 v[10:11], 2, v[8:9]
	v_mov_b32_e32 v9, s23
	v_add_co_u32_e32 v10, vcc, s22, v10
	v_addc_co_u32_e32 v11, vcc, v9, v11, vcc
	s_mov_b64 s[26:27], 0
                                        ; implicit-def: $sgpr28_sgpr29
	s_branch .LBB3_18
.LBB3_17:                               ;   in Loop: Header=BB3_18 Depth=2
	s_or_b64 exec, exec, s[30:31]
	s_and_b64 s[30:31], exec, s[28:29]
	v_mov_b32_e32 v9, v8
	s_or_b64 s[26:27], s[30:31], s[26:27]
	v_mov_b32_e32 v8, v13
	s_andn2_b64 exec, exec, s[26:27]
	s_cbranch_execz .LBB3_20
.LBB3_18:                               ;   Parent Loop BB3_7 Depth=1
                                        ; =>  This Inner Loop Header: Depth=2
	global_load_dword v9, v[10:11], off
	s_or_b64 s[28:29], s[28:29], exec
                                        ; implicit-def: $vgpr13
	s_waitcnt vmcnt(0)
	v_cmp_ne_u32_e32 vcc, v9, v1
	s_and_saveexec_b64 s[30:31], vcc
	s_cbranch_execz .LBB3_17
; %bb.19:                               ;   in Loop: Header=BB3_18 Depth=2
	v_add_co_u32_e32 v10, vcc, 4, v10
	v_add_u32_e32 v13, 1, v8
	v_addc_co_u32_e32 v11, vcc, 0, v11, vcc
	v_cmp_ge_i32_e32 vcc, v13, v12
	s_andn2_b64 s[28:29], s[28:29], exec
	s_and_b64 s[34:35], vcc, exec
	v_mov_b32_e32 v8, -1
	s_or_b64 s[28:29], s[28:29], s[34:35]
	s_branch .LBB3_17
.LBB3_20:                               ;   in Loop: Header=BB3_7 Depth=1
	s_or_b64 exec, exec, s[26:27]
.LBB3_21:                               ;   in Loop: Header=BB3_7 Depth=1
	s_or_b64 exec, exec, s[14:15]
.LBB3_22:                               ;   in Loop: Header=BB3_7 Depth=1
	s_or_b64 exec, exec, s[2:3]
	v_cmp_ne_u32_e32 vcc, -1, v9
	s_and_saveexec_b64 s[2:3], vcc
	s_cbranch_execz .LBB3_5
; %bb.23:                               ;   in Loop: Header=BB3_7 Depth=1
	v_ashrrev_i32_e32 v10, 31, v9
	v_lshlrev_b64 v[8:9], 3, v[9:10]
	s_waitcnt lgkmcnt(0)
	v_mov_b32_e32 v1, s5
	v_add_co_u32_e32 v8, vcc, s4, v8
	v_addc_co_u32_e32 v9, vcc, v1, v9, vcc
	global_load_dwordx2 v[10:11], v[8:9], off
	s_waitcnt vmcnt(0)
	v_fma_f64 v[6:7], s[12:13], v[6:7], v[10:11]
	global_store_dwordx2 v[8:9], v[6:7], off
	s_branch .LBB3_5
.LBB3_24:
	s_endpgm
	.section	.rodata,"a",@progbits
	.p2align	6, 0x0
	.amdhsa_kernel _ZN9rocsolver6v33100L17rf_add_QAQ_kernelIdEEviPiS2_T_S2_S2_PS3_S2_S2_S4_
		.amdhsa_group_segment_fixed_size 0
		.amdhsa_private_segment_fixed_size 0
		.amdhsa_kernarg_size 336
		.amdhsa_user_sgpr_count 6
		.amdhsa_user_sgpr_private_segment_buffer 1
		.amdhsa_user_sgpr_dispatch_ptr 0
		.amdhsa_user_sgpr_queue_ptr 0
		.amdhsa_user_sgpr_kernarg_segment_ptr 1
		.amdhsa_user_sgpr_dispatch_id 0
		.amdhsa_user_sgpr_flat_scratch_init 0
		.amdhsa_user_sgpr_private_segment_size 0
		.amdhsa_uses_dynamic_stack 0
		.amdhsa_system_sgpr_private_segment_wavefront_offset 0
		.amdhsa_system_sgpr_workgroup_id_x 1
		.amdhsa_system_sgpr_workgroup_id_y 0
		.amdhsa_system_sgpr_workgroup_id_z 0
		.amdhsa_system_sgpr_workgroup_info 0
		.amdhsa_system_vgpr_workitem_id 1
		.amdhsa_next_free_vgpr 14
		.amdhsa_next_free_sgpr 36
		.amdhsa_reserve_vcc 1
		.amdhsa_reserve_flat_scratch 0
		.amdhsa_float_round_mode_32 0
		.amdhsa_float_round_mode_16_64 0
		.amdhsa_float_denorm_mode_32 3
		.amdhsa_float_denorm_mode_16_64 3
		.amdhsa_dx10_clamp 1
		.amdhsa_ieee_mode 1
		.amdhsa_fp16_overflow 0
		.amdhsa_exception_fp_ieee_invalid_op 0
		.amdhsa_exception_fp_denorm_src 0
		.amdhsa_exception_fp_ieee_div_zero 0
		.amdhsa_exception_fp_ieee_overflow 0
		.amdhsa_exception_fp_ieee_underflow 0
		.amdhsa_exception_fp_ieee_inexact 0
		.amdhsa_exception_int_div_zero 0
	.end_amdhsa_kernel
	.section	.text._ZN9rocsolver6v33100L17rf_add_QAQ_kernelIdEEviPiS2_T_S2_S2_PS3_S2_S2_S4_,"axG",@progbits,_ZN9rocsolver6v33100L17rf_add_QAQ_kernelIdEEviPiS2_T_S2_S2_PS3_S2_S2_S4_,comdat
.Lfunc_end3:
	.size	_ZN9rocsolver6v33100L17rf_add_QAQ_kernelIdEEviPiS2_T_S2_S2_PS3_S2_S2_S4_, .Lfunc_end3-_ZN9rocsolver6v33100L17rf_add_QAQ_kernelIdEEviPiS2_T_S2_S2_PS3_S2_S2_S4_
                                        ; -- End function
	.set _ZN9rocsolver6v33100L17rf_add_QAQ_kernelIdEEviPiS2_T_S2_S2_PS3_S2_S2_S4_.num_vgpr, 14
	.set _ZN9rocsolver6v33100L17rf_add_QAQ_kernelIdEEviPiS2_T_S2_S2_PS3_S2_S2_S4_.num_agpr, 0
	.set _ZN9rocsolver6v33100L17rf_add_QAQ_kernelIdEEviPiS2_T_S2_S2_PS3_S2_S2_S4_.numbered_sgpr, 36
	.set _ZN9rocsolver6v33100L17rf_add_QAQ_kernelIdEEviPiS2_T_S2_S2_PS3_S2_S2_S4_.num_named_barrier, 0
	.set _ZN9rocsolver6v33100L17rf_add_QAQ_kernelIdEEviPiS2_T_S2_S2_PS3_S2_S2_S4_.private_seg_size, 0
	.set _ZN9rocsolver6v33100L17rf_add_QAQ_kernelIdEEviPiS2_T_S2_S2_PS3_S2_S2_S4_.uses_vcc, 1
	.set _ZN9rocsolver6v33100L17rf_add_QAQ_kernelIdEEviPiS2_T_S2_S2_PS3_S2_S2_S4_.uses_flat_scratch, 0
	.set _ZN9rocsolver6v33100L17rf_add_QAQ_kernelIdEEviPiS2_T_S2_S2_PS3_S2_S2_S4_.has_dyn_sized_stack, 0
	.set _ZN9rocsolver6v33100L17rf_add_QAQ_kernelIdEEviPiS2_T_S2_S2_PS3_S2_S2_S4_.has_recursion, 0
	.set _ZN9rocsolver6v33100L17rf_add_QAQ_kernelIdEEviPiS2_T_S2_S2_PS3_S2_S2_S4_.has_indirect_call, 0
	.section	.AMDGPU.csdata,"",@progbits
; Kernel info:
; codeLenInByte = 848
; TotalNumSgprs: 40
; NumVgprs: 14
; ScratchSize: 0
; MemoryBound: 0
; FloatMode: 240
; IeeeMode: 1
; LDSByteSize: 0 bytes/workgroup (compile time only)
; SGPRBlocks: 4
; VGPRBlocks: 3
; NumSGPRsForWavesPerEU: 40
; NumVGPRsForWavesPerEU: 14
; Occupancy: 10
; WaveLimiterHint : 1
; COMPUTE_PGM_RSRC2:SCRATCH_EN: 0
; COMPUTE_PGM_RSRC2:USER_SGPR: 6
; COMPUTE_PGM_RSRC2:TRAP_HANDLER: 0
; COMPUTE_PGM_RSRC2:TGID_X_EN: 1
; COMPUTE_PGM_RSRC2:TGID_Y_EN: 0
; COMPUTE_PGM_RSRC2:TGID_Z_EN: 0
; COMPUTE_PGM_RSRC2:TIDIG_COMP_CNT: 1
	.section	.AMDGPU.gpr_maximums,"",@progbits
	.set amdgpu.max_num_vgpr, 0
	.set amdgpu.max_num_agpr, 0
	.set amdgpu.max_num_sgpr, 0
	.section	.AMDGPU.csdata,"",@progbits
	.type	__hip_cuid_44495c27da742c3a,@object ; @__hip_cuid_44495c27da742c3a
	.section	.bss,"aw",@nobits
	.globl	__hip_cuid_44495c27da742c3a
__hip_cuid_44495c27da742c3a:
	.byte	0                               ; 0x0
	.size	__hip_cuid_44495c27da742c3a, 1

	.ident	"AMD clang version 22.0.0git (https://github.com/RadeonOpenCompute/llvm-project roc-7.2.4 26084 f58b06dce1f9c15707c5f808fd002e18c2accf7e)"
	.section	".note.GNU-stack","",@progbits
	.addrsig
	.addrsig_sym __hip_cuid_44495c27da742c3a
	.amdgpu_metadata
---
amdhsa.kernels:
  - .args:
      - .offset:         0
        .size:           4
        .value_kind:     by_value
      - .address_space:  global
        .offset:         8
        .size:           8
        .value_kind:     global_buffer
      - .address_space:  global
        .offset:         16
        .size:           8
        .value_kind:     global_buffer
      - .offset:         24
        .size:           4
        .value_kind:     hidden_block_count_x
      - .offset:         28
        .size:           4
        .value_kind:     hidden_block_count_y
      - .offset:         32
        .size:           4
        .value_kind:     hidden_block_count_z
      - .offset:         36
        .size:           2
        .value_kind:     hidden_group_size_x
      - .offset:         38
        .size:           2
        .value_kind:     hidden_group_size_y
      - .offset:         40
        .size:           2
        .value_kind:     hidden_group_size_z
      - .offset:         42
        .size:           2
        .value_kind:     hidden_remainder_x
      - .offset:         44
        .size:           2
        .value_kind:     hidden_remainder_y
      - .offset:         46
        .size:           2
        .value_kind:     hidden_remainder_z
      - .offset:         64
        .size:           8
        .value_kind:     hidden_global_offset_x
      - .offset:         72
        .size:           8
        .value_kind:     hidden_global_offset_y
      - .offset:         80
        .size:           8
        .value_kind:     hidden_global_offset_z
      - .offset:         88
        .size:           2
        .value_kind:     hidden_grid_dims
    .group_segment_fixed_size: 0
    .kernarg_segment_align: 8
    .kernarg_segment_size: 280
    .language:       OpenCL C
    .language_version:
      - 2
      - 0
    .max_flat_workgroup_size: 1024
    .name:           _ZN9rocsolver6v33100L15rf_ipvec_kernelIfEEviPiS2_
    .private_segment_fixed_size: 0
    .sgpr_count:     11
    .sgpr_spill_count: 0
    .symbol:         _ZN9rocsolver6v33100L15rf_ipvec_kernelIfEEviPiS2_.kd
    .uniform_work_group_size: 1
    .uses_dynamic_stack: false
    .vgpr_count:     4
    .vgpr_spill_count: 0
    .wavefront_size: 64
  - .args:
      - .offset:         0
        .size:           4
        .value_kind:     by_value
      - .address_space:  global
        .offset:         8
        .size:           8
        .value_kind:     global_buffer
      - .address_space:  global
        .offset:         16
        .size:           8
        .value_kind:     global_buffer
      - .offset:         24
        .size:           4
        .value_kind:     by_value
      - .address_space:  global
        .offset:         32
        .size:           8
        .value_kind:     global_buffer
      - .address_space:  global
        .offset:         40
        .size:           8
        .value_kind:     global_buffer
      - .address_space:  global
        .offset:         48
        .size:           8
        .value_kind:     global_buffer
      - .address_space:  global
        .offset:         56
        .size:           8
        .value_kind:     global_buffer
      - .address_space:  global
        .offset:         64
        .size:           8
        .value_kind:     global_buffer
      - .address_space:  global
        .offset:         72
        .size:           8
        .value_kind:     global_buffer
      - .offset:         80
        .size:           4
        .value_kind:     hidden_block_count_x
      - .offset:         84
        .size:           4
        .value_kind:     hidden_block_count_y
      - .offset:         88
        .size:           4
        .value_kind:     hidden_block_count_z
      - .offset:         92
        .size:           2
        .value_kind:     hidden_group_size_x
      - .offset:         94
        .size:           2
        .value_kind:     hidden_group_size_y
      - .offset:         96
        .size:           2
        .value_kind:     hidden_group_size_z
      - .offset:         98
        .size:           2
        .value_kind:     hidden_remainder_x
      - .offset:         100
        .size:           2
        .value_kind:     hidden_remainder_y
      - .offset:         102
        .size:           2
        .value_kind:     hidden_remainder_z
      - .offset:         120
        .size:           8
        .value_kind:     hidden_global_offset_x
      - .offset:         128
        .size:           8
        .value_kind:     hidden_global_offset_y
      - .offset:         136
        .size:           8
        .value_kind:     hidden_global_offset_z
      - .offset:         144
        .size:           2
        .value_kind:     hidden_grid_dims
    .group_segment_fixed_size: 0
    .kernarg_segment_align: 8
    .kernarg_segment_size: 336
    .language:       OpenCL C
    .language_version:
      - 2
      - 0
    .max_flat_workgroup_size: 1024
    .name:           _ZN9rocsolver6v33100L17rf_add_QAQ_kernelIfEEviPiS2_T_S2_S2_PS3_S2_S2_S4_
    .private_segment_fixed_size: 0
    .sgpr_count:     40
    .sgpr_spill_count: 0
    .symbol:         _ZN9rocsolver6v33100L17rf_add_QAQ_kernelIfEEviPiS2_T_S2_S2_PS3_S2_S2_S4_.kd
    .uniform_work_group_size: 1
    .uses_dynamic_stack: false
    .vgpr_count:     13
    .vgpr_spill_count: 0
    .wavefront_size: 64
  - .args:
      - .offset:         0
        .size:           4
        .value_kind:     by_value
      - .address_space:  global
        .offset:         8
        .size:           8
        .value_kind:     global_buffer
      - .address_space:  global
        .offset:         16
        .size:           8
        .value_kind:     global_buffer
      - .offset:         24
        .size:           4
        .value_kind:     hidden_block_count_x
      - .offset:         28
        .size:           4
        .value_kind:     hidden_block_count_y
      - .offset:         32
        .size:           4
        .value_kind:     hidden_block_count_z
      - .offset:         36
        .size:           2
        .value_kind:     hidden_group_size_x
      - .offset:         38
        .size:           2
        .value_kind:     hidden_group_size_y
      - .offset:         40
        .size:           2
        .value_kind:     hidden_group_size_z
      - .offset:         42
        .size:           2
        .value_kind:     hidden_remainder_x
      - .offset:         44
        .size:           2
        .value_kind:     hidden_remainder_y
      - .offset:         46
        .size:           2
        .value_kind:     hidden_remainder_z
      - .offset:         64
        .size:           8
        .value_kind:     hidden_global_offset_x
      - .offset:         72
        .size:           8
        .value_kind:     hidden_global_offset_y
      - .offset:         80
        .size:           8
        .value_kind:     hidden_global_offset_z
      - .offset:         88
        .size:           2
        .value_kind:     hidden_grid_dims
    .group_segment_fixed_size: 0
    .kernarg_segment_align: 8
    .kernarg_segment_size: 280
    .language:       OpenCL C
    .language_version:
      - 2
      - 0
    .max_flat_workgroup_size: 1024
    .name:           _ZN9rocsolver6v33100L15rf_ipvec_kernelIdEEviPiS2_
    .private_segment_fixed_size: 0
    .sgpr_count:     11
    .sgpr_spill_count: 0
    .symbol:         _ZN9rocsolver6v33100L15rf_ipvec_kernelIdEEviPiS2_.kd
    .uniform_work_group_size: 1
    .uses_dynamic_stack: false
    .vgpr_count:     4
    .vgpr_spill_count: 0
    .wavefront_size: 64
  - .args:
      - .offset:         0
        .size:           4
        .value_kind:     by_value
      - .address_space:  global
        .offset:         8
        .size:           8
        .value_kind:     global_buffer
      - .address_space:  global
        .offset:         16
        .size:           8
        .value_kind:     global_buffer
      - .offset:         24
        .size:           8
        .value_kind:     by_value
      - .address_space:  global
        .offset:         32
        .size:           8
        .value_kind:     global_buffer
      - .address_space:  global
        .offset:         40
        .size:           8
        .value_kind:     global_buffer
      - .address_space:  global
        .offset:         48
        .size:           8
        .value_kind:     global_buffer
      - .address_space:  global
        .offset:         56
        .size:           8
        .value_kind:     global_buffer
      - .address_space:  global
        .offset:         64
        .size:           8
        .value_kind:     global_buffer
      - .address_space:  global
        .offset:         72
        .size:           8
        .value_kind:     global_buffer
      - .offset:         80
        .size:           4
        .value_kind:     hidden_block_count_x
      - .offset:         84
        .size:           4
        .value_kind:     hidden_block_count_y
      - .offset:         88
        .size:           4
        .value_kind:     hidden_block_count_z
      - .offset:         92
        .size:           2
        .value_kind:     hidden_group_size_x
      - .offset:         94
        .size:           2
        .value_kind:     hidden_group_size_y
      - .offset:         96
        .size:           2
        .value_kind:     hidden_group_size_z
      - .offset:         98
        .size:           2
        .value_kind:     hidden_remainder_x
      - .offset:         100
        .size:           2
        .value_kind:     hidden_remainder_y
      - .offset:         102
        .size:           2
        .value_kind:     hidden_remainder_z
      - .offset:         120
        .size:           8
        .value_kind:     hidden_global_offset_x
      - .offset:         128
        .size:           8
        .value_kind:     hidden_global_offset_y
      - .offset:         136
        .size:           8
        .value_kind:     hidden_global_offset_z
      - .offset:         144
        .size:           2
        .value_kind:     hidden_grid_dims
    .group_segment_fixed_size: 0
    .kernarg_segment_align: 8
    .kernarg_segment_size: 336
    .language:       OpenCL C
    .language_version:
      - 2
      - 0
    .max_flat_workgroup_size: 1024
    .name:           _ZN9rocsolver6v33100L17rf_add_QAQ_kernelIdEEviPiS2_T_S2_S2_PS3_S2_S2_S4_
    .private_segment_fixed_size: 0
    .sgpr_count:     40
    .sgpr_spill_count: 0
    .symbol:         _ZN9rocsolver6v33100L17rf_add_QAQ_kernelIdEEviPiS2_T_S2_S2_PS3_S2_S2_S4_.kd
    .uniform_work_group_size: 1
    .uses_dynamic_stack: false
    .vgpr_count:     14
    .vgpr_spill_count: 0
    .wavefront_size: 64
amdhsa.target:   amdgcn-amd-amdhsa--gfx906
amdhsa.version:
  - 1
  - 2
...

	.end_amdgpu_metadata
